;; amdgpu-corpus repo=ROCm/rocFFT kind=compiled arch=gfx906 opt=O3
	.text
	.amdgcn_target "amdgcn-amd-amdhsa--gfx906"
	.amdhsa_code_object_version 6
	.protected	fft_rtc_back_len780_factors_2_3_13_5_2_wgs_234_tpt_78_halfLds_sp_op_CI_CI_unitstride_sbrr_R2C_dirReg ; -- Begin function fft_rtc_back_len780_factors_2_3_13_5_2_wgs_234_tpt_78_halfLds_sp_op_CI_CI_unitstride_sbrr_R2C_dirReg
	.globl	fft_rtc_back_len780_factors_2_3_13_5_2_wgs_234_tpt_78_halfLds_sp_op_CI_CI_unitstride_sbrr_R2C_dirReg
	.p2align	8
	.type	fft_rtc_back_len780_factors_2_3_13_5_2_wgs_234_tpt_78_halfLds_sp_op_CI_CI_unitstride_sbrr_R2C_dirReg,@function
fft_rtc_back_len780_factors_2_3_13_5_2_wgs_234_tpt_78_halfLds_sp_op_CI_CI_unitstride_sbrr_R2C_dirReg: ; @fft_rtc_back_len780_factors_2_3_13_5_2_wgs_234_tpt_78_halfLds_sp_op_CI_CI_unitstride_sbrr_R2C_dirReg
; %bb.0:
	s_load_dwordx4 s[8:11], s[4:5], 0x58
	s_load_dwordx4 s[12:15], s[4:5], 0x0
	;; [unrolled: 1-line block ×3, first 2 shown]
	v_mul_u32_u24_e32 v1, 0x349, v0
	v_lshrrev_b32_e32 v1, 16, v1
	v_mad_u64_u32 v[3:4], s[0:1], s6, 3, v[1:2]
	v_mov_b32_e32 v5, 0
	v_mov_b32_e32 v1, 0
	;; [unrolled: 1-line block ×3, first 2 shown]
	s_waitcnt lgkmcnt(0)
	v_cmp_lt_u64_e64 s[0:1], s[14:15], 2
	v_mov_b32_e32 v2, 0
	v_mov_b32_e32 v25, v2
	;; [unrolled: 1-line block ×3, first 2 shown]
	s_and_b64 vcc, exec, s[0:1]
	v_mov_b32_e32 v24, v1
	v_mov_b32_e32 v26, v3
	s_cbranch_vccnz .LBB0_8
; %bb.1:
	s_load_dwordx2 s[0:1], s[4:5], 0x10
	s_add_u32 s2, s18, 8
	s_addc_u32 s3, s19, 0
	s_add_u32 s6, s16, 8
	v_mov_b32_e32 v1, 0
	s_addc_u32 s7, s17, 0
	v_mov_b32_e32 v2, 0
	s_waitcnt lgkmcnt(0)
	s_add_u32 s20, s0, 8
	v_mov_b32_e32 v25, v2
	v_mov_b32_e32 v8, v4
	s_addc_u32 s21, s1, 0
	s_mov_b64 s[22:23], 1
	v_mov_b32_e32 v24, v1
	v_mov_b32_e32 v7, v3
.LBB0_2:                                ; =>This Inner Loop Header: Depth=1
	s_load_dwordx2 s[24:25], s[20:21], 0x0
                                        ; implicit-def: $vgpr26_vgpr27
	s_waitcnt lgkmcnt(0)
	v_or_b32_e32 v6, s25, v8
	v_cmp_ne_u64_e32 vcc, 0, v[5:6]
	s_and_saveexec_b64 s[0:1], vcc
	s_xor_b64 s[26:27], exec, s[0:1]
	s_cbranch_execz .LBB0_4
; %bb.3:                                ;   in Loop: Header=BB0_2 Depth=1
	v_cvt_f32_u32_e32 v4, s24
	v_cvt_f32_u32_e32 v6, s25
	s_sub_u32 s0, 0, s24
	s_subb_u32 s1, 0, s25
	v_mac_f32_e32 v4, 0x4f800000, v6
	v_rcp_f32_e32 v4, v4
	v_mul_f32_e32 v4, 0x5f7ffffc, v4
	v_mul_f32_e32 v6, 0x2f800000, v4
	v_trunc_f32_e32 v6, v6
	v_mac_f32_e32 v4, 0xcf800000, v6
	v_cvt_u32_f32_e32 v6, v6
	v_cvt_u32_f32_e32 v4, v4
	v_mul_lo_u32 v9, s0, v6
	v_mul_hi_u32 v10, s0, v4
	v_mul_lo_u32 v12, s1, v4
	v_mul_lo_u32 v11, s0, v4
	v_add_u32_e32 v9, v10, v9
	v_add_u32_e32 v9, v9, v12
	v_mul_hi_u32 v10, v4, v11
	v_mul_lo_u32 v12, v4, v9
	v_mul_hi_u32 v14, v4, v9
	v_mul_hi_u32 v13, v6, v11
	v_mul_lo_u32 v11, v6, v11
	v_mul_hi_u32 v15, v6, v9
	v_add_co_u32_e32 v10, vcc, v10, v12
	v_addc_co_u32_e32 v12, vcc, 0, v14, vcc
	v_mul_lo_u32 v9, v6, v9
	v_add_co_u32_e32 v10, vcc, v10, v11
	v_addc_co_u32_e32 v10, vcc, v12, v13, vcc
	v_addc_co_u32_e32 v11, vcc, 0, v15, vcc
	v_add_co_u32_e32 v9, vcc, v10, v9
	v_addc_co_u32_e32 v10, vcc, 0, v11, vcc
	v_add_co_u32_e32 v4, vcc, v4, v9
	v_addc_co_u32_e32 v6, vcc, v6, v10, vcc
	v_mul_lo_u32 v9, s0, v6
	v_mul_hi_u32 v10, s0, v4
	v_mul_lo_u32 v11, s1, v4
	v_mul_lo_u32 v12, s0, v4
	v_add_u32_e32 v9, v10, v9
	v_add_u32_e32 v9, v9, v11
	v_mul_lo_u32 v13, v4, v9
	v_mul_hi_u32 v14, v4, v12
	v_mul_hi_u32 v15, v4, v9
	;; [unrolled: 1-line block ×3, first 2 shown]
	v_mul_lo_u32 v12, v6, v12
	v_mul_hi_u32 v10, v6, v9
	v_add_co_u32_e32 v13, vcc, v14, v13
	v_addc_co_u32_e32 v14, vcc, 0, v15, vcc
	v_mul_lo_u32 v9, v6, v9
	v_add_co_u32_e32 v12, vcc, v13, v12
	v_addc_co_u32_e32 v11, vcc, v14, v11, vcc
	v_addc_co_u32_e32 v10, vcc, 0, v10, vcc
	v_add_co_u32_e32 v9, vcc, v11, v9
	v_addc_co_u32_e32 v10, vcc, 0, v10, vcc
	v_add_co_u32_e32 v4, vcc, v4, v9
	v_addc_co_u32_e32 v6, vcc, v6, v10, vcc
	v_mad_u64_u32 v[9:10], s[0:1], v7, v6, 0
	v_mul_hi_u32 v11, v7, v4
	v_add_co_u32_e32 v13, vcc, v11, v9
	v_addc_co_u32_e32 v14, vcc, 0, v10, vcc
	v_mad_u64_u32 v[9:10], s[0:1], v8, v4, 0
	v_mad_u64_u32 v[11:12], s[0:1], v8, v6, 0
	v_add_co_u32_e32 v4, vcc, v13, v9
	v_addc_co_u32_e32 v4, vcc, v14, v10, vcc
	v_addc_co_u32_e32 v6, vcc, 0, v12, vcc
	v_add_co_u32_e32 v4, vcc, v4, v11
	v_addc_co_u32_e32 v6, vcc, 0, v6, vcc
	v_mul_lo_u32 v11, s25, v4
	v_mul_lo_u32 v12, s24, v6
	v_mad_u64_u32 v[9:10], s[0:1], s24, v4, 0
	v_add3_u32 v10, v10, v12, v11
	v_sub_u32_e32 v11, v8, v10
	v_mov_b32_e32 v12, s25
	v_sub_co_u32_e32 v9, vcc, v7, v9
	v_subb_co_u32_e64 v11, s[0:1], v11, v12, vcc
	v_subrev_co_u32_e64 v12, s[0:1], s24, v9
	v_subbrev_co_u32_e64 v11, s[0:1], 0, v11, s[0:1]
	v_cmp_le_u32_e64 s[0:1], s25, v11
	v_cndmask_b32_e64 v13, 0, -1, s[0:1]
	v_cmp_le_u32_e64 s[0:1], s24, v12
	v_cndmask_b32_e64 v12, 0, -1, s[0:1]
	v_cmp_eq_u32_e64 s[0:1], s25, v11
	v_cndmask_b32_e64 v11, v13, v12, s[0:1]
	v_add_co_u32_e64 v12, s[0:1], 2, v4
	v_addc_co_u32_e64 v13, s[0:1], 0, v6, s[0:1]
	v_add_co_u32_e64 v14, s[0:1], 1, v4
	v_addc_co_u32_e64 v15, s[0:1], 0, v6, s[0:1]
	v_subb_co_u32_e32 v10, vcc, v8, v10, vcc
	v_cmp_ne_u32_e64 s[0:1], 0, v11
	v_cmp_le_u32_e32 vcc, s25, v10
	v_cndmask_b32_e64 v11, v15, v13, s[0:1]
	v_cndmask_b32_e64 v13, 0, -1, vcc
	v_cmp_le_u32_e32 vcc, s24, v9
	v_cndmask_b32_e64 v9, 0, -1, vcc
	v_cmp_eq_u32_e32 vcc, s25, v10
	v_cndmask_b32_e32 v9, v13, v9, vcc
	v_cmp_ne_u32_e32 vcc, 0, v9
	v_cndmask_b32_e32 v27, v6, v11, vcc
	v_cndmask_b32_e64 v6, v14, v12, s[0:1]
	v_cndmask_b32_e32 v26, v4, v6, vcc
.LBB0_4:                                ;   in Loop: Header=BB0_2 Depth=1
	s_andn2_saveexec_b64 s[0:1], s[26:27]
	s_cbranch_execz .LBB0_6
; %bb.5:                                ;   in Loop: Header=BB0_2 Depth=1
	v_cvt_f32_u32_e32 v4, s24
	s_sub_i32 s26, 0, s24
	v_mov_b32_e32 v27, v5
	v_rcp_iflag_f32_e32 v4, v4
	v_mul_f32_e32 v4, 0x4f7ffffe, v4
	v_cvt_u32_f32_e32 v4, v4
	v_mul_lo_u32 v6, s26, v4
	v_mul_hi_u32 v6, v4, v6
	v_add_u32_e32 v4, v4, v6
	v_mul_hi_u32 v4, v7, v4
	v_mul_lo_u32 v6, v4, s24
	v_add_u32_e32 v9, 1, v4
	v_sub_u32_e32 v6, v7, v6
	v_subrev_u32_e32 v10, s24, v6
	v_cmp_le_u32_e32 vcc, s24, v6
	v_cndmask_b32_e32 v6, v6, v10, vcc
	v_cndmask_b32_e32 v4, v4, v9, vcc
	v_add_u32_e32 v9, 1, v4
	v_cmp_le_u32_e32 vcc, s24, v6
	v_cndmask_b32_e32 v26, v4, v9, vcc
.LBB0_6:                                ;   in Loop: Header=BB0_2 Depth=1
	s_or_b64 exec, exec, s[0:1]
	v_mul_lo_u32 v4, v27, s24
	v_mul_lo_u32 v6, v26, s25
	v_mad_u64_u32 v[9:10], s[0:1], v26, s24, 0
	s_load_dwordx2 s[0:1], s[6:7], 0x0
	s_load_dwordx2 s[24:25], s[2:3], 0x0
	v_add3_u32 v4, v10, v6, v4
	v_sub_co_u32_e32 v6, vcc, v7, v9
	v_subb_co_u32_e32 v4, vcc, v8, v4, vcc
	s_waitcnt lgkmcnt(0)
	v_mul_lo_u32 v7, s0, v4
	v_mul_lo_u32 v8, s1, v6
	v_mad_u64_u32 v[1:2], s[0:1], s0, v6, v[1:2]
	s_add_u32 s22, s22, 1
	s_addc_u32 s23, s23, 0
	s_add_u32 s2, s2, 8
	v_mul_lo_u32 v4, s24, v4
	v_mul_lo_u32 v9, s25, v6
	v_mad_u64_u32 v[24:25], s[0:1], s24, v6, v[24:25]
	v_add3_u32 v2, v8, v2, v7
	s_addc_u32 s3, s3, 0
	v_mov_b32_e32 v6, s14
	s_add_u32 s6, s6, 8
	v_mov_b32_e32 v7, s15
	s_addc_u32 s7, s7, 0
	v_cmp_ge_u64_e32 vcc, s[22:23], v[6:7]
	s_add_u32 s20, s20, 8
	v_add3_u32 v25, v9, v25, v4
	s_addc_u32 s21, s21, 0
	s_cbranch_vccnz .LBB0_8
; %bb.7:                                ;   in Loop: Header=BB0_2 Depth=1
	v_mov_b32_e32 v7, v26
	v_mov_b32_e32 v8, v27
	s_branch .LBB0_2
.LBB0_8:
	s_mov_b32 s0, 0xaaaaaaab
	s_load_dwordx2 s[4:5], s[4:5], 0x28
	v_mul_hi_u32 v4, v3, s0
	s_lshl_b64 s[6:7], s[14:15], 3
	s_add_u32 s2, s18, s6
	s_addc_u32 s3, s19, s7
	v_lshrrev_b32_e32 v4, 1, v4
	v_lshl_add_u32 v4, v4, 1, v4
	s_waitcnt lgkmcnt(0)
	v_cmp_gt_u64_e64 s[0:1], s[4:5], v[26:27]
	v_cmp_le_u64_e32 vcc, s[4:5], v[26:27]
	v_sub_u32_e32 v3, v3, v4
                                        ; implicit-def: $vgpr28
                                        ; implicit-def: $vgpr34
                                        ; implicit-def: $vgpr36
                                        ; implicit-def: $vgpr32
                                        ; implicit-def: $vgpr30
	s_and_saveexec_b64 s[4:5], vcc
	s_xor_b64 s[4:5], exec, s[4:5]
; %bb.9:
	s_mov_b32 s14, 0x3483484
	v_mul_hi_u32 v1, v0, s14
	v_mul_u32_u24_e32 v1, 0x4e, v1
	v_sub_u32_e32 v28, v0, v1
	v_add_u32_e32 v34, 0x4e, v28
	v_add_u32_e32 v36, 0x9c, v28
	;; [unrolled: 1-line block ×4, first 2 shown]
                                        ; implicit-def: $vgpr0
                                        ; implicit-def: $vgpr1_vgpr2
; %bb.10:
	s_or_saveexec_b64 s[4:5], s[4:5]
	v_mul_u32_u24_e32 v8, 0x30d, v3
	v_lshlrev_b32_e32 v29, 3, v8
	s_xor_b64 exec, exec, s[4:5]
	s_cbranch_execz .LBB0_12
; %bb.11:
	s_add_u32 s6, s16, s6
	s_addc_u32 s7, s17, s7
	s_load_dwordx2 s[6:7], s[6:7], 0x0
	s_mov_b32 s14, 0x3483484
	v_mul_hi_u32 v5, v0, s14
	s_waitcnt lgkmcnt(0)
	v_mul_lo_u32 v6, s7, v26
	v_mul_lo_u32 v7, s6, v27
	v_mad_u64_u32 v[3:4], s[6:7], s6, v26, 0
	v_mul_u32_u24_e32 v5, 0x4e, v5
	v_sub_u32_e32 v28, v0, v5
	v_add3_u32 v4, v4, v7, v6
	v_lshlrev_b64 v[3:4], 3, v[3:4]
	v_mov_b32_e32 v0, s9
	v_add_co_u32_e32 v3, vcc, s8, v3
	v_addc_co_u32_e32 v4, vcc, v0, v4, vcc
	v_lshlrev_b64 v[0:1], 3, v[1:2]
	v_lshlrev_b32_e32 v23, 3, v28
	v_add_co_u32_e32 v0, vcc, v3, v0
	v_addc_co_u32_e32 v1, vcc, v4, v1, vcc
	v_add_co_u32_e32 v0, vcc, v0, v23
	v_addc_co_u32_e32 v1, vcc, 0, v1, vcc
	;; [unrolled: 2-line block ×3, first 2 shown]
	global_load_dwordx2 v[4:5], v[0:1], off offset:2496
	global_load_dwordx2 v[6:7], v[0:1], off offset:3120
	;; [unrolled: 1-line block ×4, first 2 shown]
	global_load_dwordx2 v[13:14], v[0:1], off
	global_load_dwordx2 v[15:16], v[0:1], off offset:624
	global_load_dwordx2 v[17:18], v[0:1], off offset:1248
	;; [unrolled: 1-line block ×5, first 2 shown]
	v_add3_u32 v0, 0, v29, v23
	v_add_u32_e32 v34, 0x4e, v28
	v_add_u32_e32 v36, 0x9c, v28
	;; [unrolled: 1-line block ×7, first 2 shown]
	s_waitcnt vmcnt(8)
	ds_write2_b64 v1, v[4:5], v[6:7] offset0:56 offset1:134
	s_waitcnt vmcnt(4)
	ds_write2_b64 v0, v[13:14], v[15:16] offset1:78
	s_waitcnt vmcnt(2)
	ds_write2_b64 v0, v[17:18], v[19:20] offset0:156 offset1:234
	ds_write2_b64 v2, v[9:10], v[11:12] offset0:84 offset1:162
	s_waitcnt vmcnt(0)
	ds_write2_b64 v3, v[21:22], v[37:38] offset0:112 offset1:190
.LBB0_12:
	s_or_b64 exec, exec, s[4:5]
	v_lshlrev_b32_e32 v41, 3, v28
	v_add3_u32 v42, 0, v41, v29
	v_add_u32_e32 v39, 0, v29
	v_add_u32_e32 v23, 0x800, v42
	s_load_dwordx2 s[2:3], s[2:3], 0x0
	s_waitcnt lgkmcnt(0)
	s_barrier
	v_add_u32_e32 v40, v39, v41
	ds_read2_b64 v[0:3], v23 offset0:134 offset1:212
	ds_read_b64 v[4:5], v40
	ds_read_b64 v[17:18], v42 offset:5616
	v_add_u32_e32 v31, 0x1000, v42
	v_add_u32_e32 v21, v42, v41
	v_lshl_add_u32 v22, v32, 4, 0
	s_waitcnt lgkmcnt(1)
	v_sub_f32_e32 v0, v4, v0
	v_sub_f32_e32 v1, v5, v1
	v_fma_f32 v19, v4, 2.0, -v0
	v_add_u32_e32 v4, 0x400, v42
	v_fma_f32 v20, v5, 2.0, -v1
	ds_read2_b64 v[4:7], v4 offset0:106 offset1:184
	ds_read2_b64 v[9:12], v42 offset0:78 offset1:156
	;; [unrolled: 1-line block ×3, first 2 shown]
	s_waitcnt lgkmcnt(0)
	s_barrier
	ds_write2_b64 v21, v[19:20], v[0:1] offset1:1
	v_sub_f32_e32 v0, v9, v2
	v_sub_f32_e32 v1, v10, v3
	v_fma_f32 v2, v9, 2.0, -v0
	v_fma_f32 v3, v10, 2.0, -v1
	v_sub_f32_e32 v9, v11, v13
	v_sub_f32_e32 v10, v12, v14
	;; [unrolled: 1-line block ×4, first 2 shown]
	v_lshl_add_u32 v15, v34, 4, v39
	v_fma_f32 v11, v11, 2.0, -v9
	v_fma_f32 v12, v12, 2.0, -v10
	ds_write2_b64 v15, v[2:3], v[0:1] offset1:1
	v_lshl_add_u32 v2, v36, 4, v39
	v_fma_f32 v0, v4, 2.0, -v13
	v_fma_f32 v1, v5, 2.0, -v14
	v_add_u32_e32 v3, v22, v29
	v_sub_f32_e32 v20, v6, v17
	v_sub_f32_e32 v21, v7, v18
	ds_write2_b64 v2, v[11:12], v[9:10] offset1:1
	ds_write2_b64 v3, v[0:1], v[13:14] offset1:1
	v_fma_f32 v0, v6, 2.0, -v20
	v_fma_f32 v1, v7, 2.0, -v21
	v_lshl_add_u32 v3, v30, 4, v39
	ds_write2_b64 v3, v[0:1], v[20:21] offset1:1
	v_lshlrev_b32_e32 v0, 3, v34
	v_sub_u32_e32 v43, v15, v0
	v_lshlrev_b32_e32 v0, 3, v36
	v_sub_u32_e32 v44, v2, v0
	v_add_u32_e32 v0, 0xc00, v42
	s_waitcnt lgkmcnt(0)
	s_barrier
	ds_read2_b64 v[16:19], v23 offset0:4 offset1:82
	ds_read2_b64 v[12:15], v0 offset0:32 offset1:136
	;; [unrolled: 1-line block ×3, first 2 shown]
	ds_read_b64 v[6:7], v40
	ds_read_b64 v[0:1], v43
	;; [unrolled: 1-line block ×3, first 2 shown]
	v_cmp_gt_u32_e32 vcc, 26, v28
	v_lshlrev_b32_e32 v31, 3, v32
                                        ; implicit-def: $vgpr23
                                        ; implicit-def: $vgpr9
	s_and_saveexec_b64 s[4:5], vcc
	s_cbranch_execz .LBB0_14
; %bb.13:
	v_sub_u32_e32 v9, v22, v31
	v_lshl_add_u32 v20, v8, 3, v9
	ds_read_b64 v[8:9], v42 offset:3952
	ds_read_b64 v[20:21], v20
	ds_read_b64 v[22:23], v42 offset:6032
.LBB0_14:
	s_or_b64 exec, exec, s[4:5]
	v_and_b32_e32 v33, 1, v28
	v_lshlrev_b32_e32 v35, 4, v33
	global_load_dwordx4 v[45:48], v35, s[12:13]
	s_waitcnt vmcnt(0) lgkmcnt(0)
	s_barrier
	v_mul_f32_e32 v35, v46, v17
	v_mul_f32_e32 v37, v46, v16
	;; [unrolled: 1-line block ×16, first 2 shown]
	v_fmac_f32_e32 v35, v45, v16
	v_fma_f32 v16, v45, v17, -v37
	v_fmac_f32_e32 v38, v45, v18
	v_fma_f32 v17, v45, v19, -v49
	;; [unrolled: 2-line block ×8, first 2 shown]
	v_add_f32_e32 v4, v35, v6
	v_add_f32_e32 v5, v35, v50
	v_sub_f32_e32 v18, v16, v14
	v_add_f32_e32 v8, v16, v7
	v_add_f32_e32 v9, v16, v14
	v_sub_f32_e32 v23, v35, v50
	v_sub_f32_e32 v35, v17, v2
	v_add_f32_e32 v13, v1, v17
	v_add_f32_e32 v16, v17, v2
	;; [unrolled: 1-line block ×4, first 2 shown]
	v_sub_f32_e32 v57, v19, v22
	v_fma_f32 v0, -0.5, v17, v0
	v_add_f32_e32 v17, v21, v19
	v_add_f32_e32 v19, v19, v22
	v_fmac_f32_e32 v7, -0.5, v9
	v_fmac_f32_e32 v21, -0.5, v19
	v_fma_f32 v6, -0.5, v5, v6
	v_mov_b32_e32 v5, v7
	v_add_f32_e32 v17, v17, v22
	v_sub_f32_e32 v22, v58, v59
	v_mov_b32_e32 v19, v21
	v_fmac_f32_e32 v7, 0xbf5db3d7, v23
	v_fmac_f32_e32 v5, 0x3f5db3d7, v23
	;; [unrolled: 1-line block ×4, first 2 shown]
	v_lshrrev_b32_e32 v22, 1, v28
	v_lshrrev_b32_e32 v23, 1, v34
	v_mul_u32_u24_e32 v22, 6, v22
	v_mul_lo_u32 v23, v23, 6
	v_or_b32_e32 v22, v22, v33
	v_add_f32_e32 v37, v4, v50
	v_mov_b32_e32 v4, v6
	v_lshlrev_b32_e32 v22, 3, v22
	v_sub_f32_e32 v45, v38, v54
	v_add_f32_e32 v38, v8, v14
	v_fmac_f32_e32 v4, 0xbf5db3d7, v18
	v_add3_u32 v22, 0, v22, v29
	v_fmac_f32_e32 v6, 0x3f5db3d7, v18
	ds_write2_b64 v22, v[37:38], v[4:5] offset1:2
	ds_write_b64 v22, v[6:7] offset:32
	v_or_b32_e32 v22, v23, v33
	v_lshrrev_b32_e32 v23, 1, v36
	v_mul_lo_u32 v23, v23, 6
	v_fmac_f32_e32 v1, -0.5, v16
	v_add_f32_e32 v46, v10, v52
	v_add_f32_e32 v47, v52, v56
	v_sub_f32_e32 v48, v52, v56
	v_sub_f32_e32 v49, v12, v3
	v_add_f32_e32 v51, v11, v12
	v_add_f32_e32 v52, v12, v3
	;; [unrolled: 1-line block ×3, first 2 shown]
	v_mov_b32_e32 v14, v0
	v_mov_b32_e32 v15, v1
	v_lshlrev_b32_e32 v22, 3, v22
	v_add_f32_e32 v55, v58, v59
	v_add_f32_e32 v13, v13, v2
	v_fmac_f32_e32 v14, 0xbf5db3d7, v35
	v_fmac_f32_e32 v15, 0x3f5db3d7, v45
	v_add3_u32 v22, 0, v22, v29
	v_add_f32_e32 v53, v20, v58
	v_fma_f32 v10, -0.5, v47, v10
	v_fmac_f32_e32 v11, -0.5, v52
	v_fmac_f32_e32 v20, -0.5, v55
	v_fmac_f32_e32 v0, 0x3f5db3d7, v35
	v_fmac_f32_e32 v1, 0xbf5db3d7, v45
	ds_write2_b64 v22, v[12:13], v[14:15] offset1:2
	ds_write_b64 v22, v[0:1] offset:32
	v_or_b32_e32 v22, v23, v33
	v_mov_b32_e32 v8, v10
	v_mov_b32_e32 v9, v11
	;; [unrolled: 1-line block ×3, first 2 shown]
	v_lshlrev_b32_e32 v22, 3, v22
	v_add_f32_e32 v2, v46, v56
	v_add_f32_e32 v3, v51, v3
	;; [unrolled: 1-line block ×3, first 2 shown]
	v_fmac_f32_e32 v10, 0x3f5db3d7, v49
	v_fmac_f32_e32 v11, 0xbf5db3d7, v48
	;; [unrolled: 1-line block ×6, first 2 shown]
	v_add3_u32 v22, 0, v22, v29
	ds_write2_b64 v22, v[2:3], v[8:9] offset1:2
	ds_write_b64 v22, v[10:11] offset:32
	s_and_saveexec_b64 s[4:5], vcc
	s_cbranch_execz .LBB0_16
; %bb.15:
	v_lshrrev_b32_e32 v22, 1, v32
	v_mul_lo_u32 v22, v22, 6
	v_or_b32_e32 v22, v22, v33
	v_lshlrev_b32_e32 v22, 3, v22
	v_add3_u32 v22, 0, v22, v29
	ds_write2_b64 v22, v[16:17], v[18:19] offset1:2
	ds_write_b64 v22, v[20:21] offset:32
.LBB0_16:
	s_or_b64 exec, exec, s[4:5]
	v_cmp_gt_u32_e32 vcc, 60, v28
	s_waitcnt lgkmcnt(0)
	s_barrier
	s_waitcnt lgkmcnt(0)
                                        ; implicit-def: $vgpr23
	s_and_saveexec_b64 s[4:5], vcc
	s_cbranch_execz .LBB0_18
; %bb.17:
	v_add_u32_e32 v8, 0x800, v42
	v_add_u32_e32 v16, 0x1000, v42
	ds_read_b64 v[37:38], v40
	ds_read2_b64 v[4:7], v42 offset0:60 offset1:120
	ds_read2_b64 v[12:15], v42 offset0:180 offset1:240
	;; [unrolled: 1-line block ×6, first 2 shown]
.LBB0_18:
	s_or_b64 exec, exec, s[4:5]
	s_waitcnt lgkmcnt(0)
	s_barrier
	s_and_saveexec_b64 s[4:5], vcc
	s_cbranch_execz .LBB0_20
; %bb.19:
	s_movk_i32 s6, 0xab
	v_mul_lo_u16_sdwa v33, v28, s6 dst_sel:DWORD dst_unused:UNUSED_PAD src0_sel:BYTE_0 src1_sel:DWORD
	v_lshrrev_b16_e32 v33, 10, v33
	v_mul_lo_u16_e32 v35, 6, v33
	v_sub_u16_e32 v35, v28, v35
	v_mov_b32_e32 v45, 12
	v_mul_u32_u24_sdwa v45, v35, v45 dst_sel:DWORD dst_unused:UNUSED_PAD src0_sel:BYTE_0 src1_sel:DWORD
	v_lshlrev_b32_e32 v69, 3, v45
	global_load_dwordx4 v[45:48], v69, s[12:13] offset:32
	global_load_dwordx4 v[49:52], v69, s[12:13] offset:112
	;; [unrolled: 1-line block ×6, first 2 shown]
	s_mov_b32 s6, 0xbf3f9e67
	s_mov_b32 s7, 0x3df6dbef
	s_mov_b32 s8, 0x3f116cb1
	s_mov_b32 s9, 0xbf788fa5
	s_mov_b32 s14, 0x3f62ad3f
	s_mov_b32 s15, 0xbeb58ec6
	s_waitcnt vmcnt(5)
	v_mul_f32_e32 v69, v5, v46
	s_waitcnt vmcnt(4)
	v_mul_f32_e32 v71, v23, v52
	v_mul_f32_e32 v46, v4, v46
	;; [unrolled: 1-line block ×4, first 2 shown]
	v_fmac_f32_e32 v69, v4, v45
	v_fmac_f32_e32 v71, v22, v51
	v_mul_f32_e32 v52, v22, v52
	s_waitcnt vmcnt(3)
	v_mul_f32_e32 v73, v19, v56
	s_waitcnt vmcnt(2)
	;; [unrolled: 2-line block ×3, first 2 shown]
	v_mul_f32_e32 v78, v11, v68
	v_fma_f32 v45, v5, v45, -v46
	v_fmac_f32_e32 v70, v6, v47
	v_fmac_f32_e32 v72, v20, v49
	v_sub_f32_e32 v5, v69, v71
	v_mul_f32_e32 v48, v6, v48
	v_mul_f32_e32 v74, v17, v54
	;; [unrolled: 1-line block ×6, first 2 shown]
	v_fmac_f32_e32 v73, v18, v55
	v_fma_f32 v22, v23, v51, -v52
	v_fmac_f32_e32 v75, v12, v57
	v_fmac_f32_e32 v78, v10, v67
	v_sub_f32_e32 v4, v70, v72
	v_mul_f32_e32 v10, 0xbf29c268, v5
	v_mul_f32_e32 v56, v18, v56
	;; [unrolled: 1-line block ×6, first 2 shown]
	v_fma_f32 v46, v7, v47, -v48
	v_fmac_f32_e32 v74, v16, v53
	v_fma_f32 v20, v21, v49, -v50
	v_fmac_f32_e32 v76, v14, v59
	;; [unrolled: 2-line block ×3, first 2 shown]
	v_add_f32_e32 v18, v45, v22
	v_sub_f32_e32 v2, v75, v73
	v_mul_f32_e32 v11, 0x3f7e222b, v4
	v_mov_b32_e32 v6, v10
	v_mul_f32_e32 v54, v16, v54
	v_mul_f32_e32 v60, v14, v60
	;; [unrolled: 1-line block ×3, first 2 shown]
	v_fma_f32 v47, v19, v55, -v56
	v_fma_f32 v21, v13, v57, -v58
	v_fmac_f32_e32 v77, v0, v61
	v_fma_f32 v50, v1, v61, -v62
	v_add_f32_e32 v19, v46, v20
	v_sub_f32_e32 v1, v76, v74
	v_mul_f32_e32 v12, 0xbf52af12, v2
	v_mov_b32_e32 v7, v11
	v_fmac_f32_e32 v6, 0xbf3f9e67, v18
	v_mul_f32_e32 v66, v8, v66
	v_fma_f32 v48, v17, v53, -v54
	v_fma_f32 v23, v15, v59, -v60
	v_fmac_f32_e32 v80, v8, v65
	v_add_f32_e32 v53, v21, v47
	v_sub_f32_e32 v0, v77, v78
	v_mul_f32_e32 v13, 0x3e750f2a, v1
	v_mov_b32_e32 v8, v12
	v_fmac_f32_e32 v7, 0x3df6dbef, v19
	v_add_f32_e32 v6, v38, v6
	v_fma_f32 v51, v9, v65, -v66
	v_add_f32_e32 v54, v23, v48
	v_mul_f32_e32 v14, 0x3eedf032, v0
	v_mov_b32_e32 v9, v13
	v_fmac_f32_e32 v8, 0x3f116cb1, v53
	v_add_f32_e32 v6, v7, v6
	v_add_f32_e32 v55, v50, v49
	v_mov_b32_e32 v15, v14
	v_fmac_f32_e32 v9, 0xbf788fa5, v54
	v_add_f32_e32 v6, v8, v6
	v_sub_f32_e32 v56, v45, v22
	v_fmac_f32_e32 v15, 0x3f62ad3f, v55
	v_add_f32_e32 v6, v9, v6
	v_fma_f32 v52, v3, v63, -v64
	v_add_f32_e32 v3, v69, v71
	v_add_f32_e32 v6, v15, v6
	v_mul_f32_e32 v15, 0xbf29c268, v56
	v_sub_f32_e32 v58, v46, v20
	v_fma_f32 v7, v3, s6, -v15
	v_add_f32_e32 v57, v70, v72
	v_mul_f32_e32 v16, 0x3f7e222b, v58
	v_sub_f32_e32 v60, v21, v47
	v_add_f32_e32 v7, v37, v7
	v_fma_f32 v8, v57, s7, -v16
	v_add_f32_e32 v59, v75, v73
	v_mul_f32_e32 v17, 0xbf52af12, v60
	v_sub_f32_e32 v62, v23, v48
	v_add_f32_e32 v7, v8, v7
	;; [unrolled: 5-line block ×4, first 2 shown]
	v_fma_f32 v8, v64, s14, -v66
	v_mul_f32_e32 v68, 0xbf6f5d39, v67
	v_add_f32_e32 v8, v8, v7
	v_add_f32_e32 v81, v52, v51
	v_mov_b32_e32 v7, v68
	v_sub_f32_e32 v83, v52, v51
	v_fmac_f32_e32 v7, 0xbeb58ec6, v81
	v_add_f32_e32 v82, v79, v80
	v_mul_f32_e32 v84, 0xbf6f5d39, v83
	v_add_f32_e32 v7, v7, v6
	v_fma_f32 v6, v82, s15, -v84
	v_mul_f32_e32 v85, 0xbf788fa5, v18
	v_add_f32_e32 v6, v6, v8
	v_mov_b32_e32 v8, v85
	v_mul_f32_e32 v86, 0x3f62ad3f, v19
	v_fmac_f32_e32 v8, 0x3e750f2a, v5
	v_mov_b32_e32 v9, v86
	v_add_f32_e32 v8, v38, v8
	v_fmac_f32_e32 v9, 0xbeedf032, v4
	v_mul_f32_e32 v87, 0xbf3f9e67, v53
	v_add_f32_e32 v8, v9, v8
	v_mov_b32_e32 v9, v87
	v_fmac_f32_e32 v9, 0x3f29c268, v2
	v_mul_f32_e32 v88, 0x3f116cb1, v54
	v_add_f32_e32 v8, v9, v8
	v_mov_b32_e32 v9, v88
	;; [unrolled: 4-line block ×4, first 2 shown]
	v_mul_f32_e32 v91, 0x3eedf032, v58
	v_fma_f32 v10, v18, s6, -v10
	v_fmac_f32_e32 v9, 0xbf788fa5, v3
	v_mov_b32_e32 v92, v91
	v_add_f32_e32 v10, v38, v10
	v_fma_f32 v11, v19, s7, -v11
	v_add_f32_e32 v9, v37, v9
	v_fmac_f32_e32 v92, 0x3f62ad3f, v57
	v_add_f32_e32 v10, v11, v10
	v_fma_f32 v11, v53, s8, -v12
	v_add_f32_e32 v9, v92, v9
	v_mul_f32_e32 v92, 0xbf29c268, v60
	v_add_f32_e32 v10, v11, v10
	v_fma_f32 v11, v54, s9, -v13
	v_mov_b32_e32 v93, v92
	v_add_f32_e32 v10, v11, v10
	v_fma_f32 v11, v55, s14, -v14
	v_fmac_f32_e32 v15, 0xbf3f9e67, v3
	v_fmac_f32_e32 v93, 0xbf3f9e67, v59
	v_add_f32_e32 v10, v11, v10
	v_add_f32_e32 v11, v37, v15
	v_fmac_f32_e32 v16, 0x3df6dbef, v57
	v_add_f32_e32 v9, v93, v9
	v_mul_f32_e32 v93, 0x3f52af12, v62
	v_add_f32_e32 v11, v16, v11
	v_fmac_f32_e32 v17, 0x3f116cb1, v59
	v_mov_b32_e32 v94, v93
	v_add_f32_e32 v11, v17, v11
	v_fmac_f32_e32 v63, 0xbf788fa5, v61
	v_fmac_f32_e32 v94, 0x3f116cb1, v61
	v_add_f32_e32 v11, v63, v11
	v_fmac_f32_e32 v66, 0x3f62ad3f, v64
	v_add_f32_e32 v9, v94, v9
	v_mul_f32_e32 v94, 0xbf6f5d39, v65
	v_add_f32_e32 v12, v66, v11
	v_fma_f32 v11, v81, s15, -v68
	v_fmac_f32_e32 v84, 0xbeb58ec6, v82
	v_mul_f32_e32 v63, 0xbeb58ec6, v18
	v_mov_b32_e32 v95, v94
	v_add_f32_e32 v11, v11, v10
	v_add_f32_e32 v10, v84, v12
	v_mov_b32_e32 v12, v63
	v_mul_f32_e32 v66, 0xbf3f9e67, v19
	v_fmac_f32_e32 v95, 0xbeb58ec6, v64
	v_mul_f32_e32 v96, 0x3df6dbef, v81
	v_fmac_f32_e32 v12, 0x3f6f5d39, v5
	v_mov_b32_e32 v13, v66
	v_add_f32_e32 v95, v95, v9
	v_mov_b32_e32 v9, v96
	v_add_f32_e32 v12, v38, v12
	v_fmac_f32_e32 v13, 0xbf29c268, v4
	v_mul_f32_e32 v68, 0x3f62ad3f, v53
	v_fmac_f32_e32 v9, 0xbf7e222b, v67
	v_mul_f32_e32 v97, 0x3f7e222b, v83
	v_add_f32_e32 v12, v13, v12
	v_mov_b32_e32 v13, v68
	v_add_f32_e32 v9, v9, v8
	v_mov_b32_e32 v8, v97
	v_fmac_f32_e32 v13, 0xbeedf032, v2
	v_mul_f32_e32 v84, 0x3df6dbef, v54
	v_fmac_f32_e32 v8, 0x3df6dbef, v82
	v_add_f32_e32 v12, v13, v12
	v_mov_b32_e32 v13, v84
	v_add_f32_e32 v8, v8, v95
	v_fmac_f32_e32 v13, 0x3f7e222b, v1
	v_mul_f32_e32 v95, 0xbf788fa5, v55
	v_add_f32_e32 v12, v13, v12
	v_mov_b32_e32 v13, v95
	v_fmac_f32_e32 v13, 0xbe750f2a, v0
	v_mul_f32_e32 v98, 0xbf6f5d39, v56
	v_add_f32_e32 v12, v13, v12
	v_mov_b32_e32 v13, v98
	v_mul_f32_e32 v99, 0x3f29c268, v58
	v_fmac_f32_e32 v13, 0xbeb58ec6, v3
	v_mov_b32_e32 v14, v99
	v_add_f32_e32 v13, v37, v13
	v_fmac_f32_e32 v14, 0xbf3f9e67, v57
	v_mul_f32_e32 v100, 0x3eedf032, v60
	v_add_f32_e32 v13, v14, v13
	v_mov_b32_e32 v14, v100
	v_fmac_f32_e32 v14, 0x3f62ad3f, v59
	v_mul_f32_e32 v101, 0xbf7e222b, v62
	v_add_f32_e32 v13, v14, v13
	v_mov_b32_e32 v14, v101
	;; [unrolled: 4-line block ×6, first 2 shown]
	v_mul_f32_e32 v106, 0xbf788fa5, v19
	v_fmac_f32_e32 v14, 0x3f7e222b, v5
	v_mov_b32_e32 v15, v106
	v_add_f32_e32 v14, v38, v14
	v_fmac_f32_e32 v15, 0x3e750f2a, v4
	v_mul_f32_e32 v107, 0xbeb58ec6, v53
	v_add_f32_e32 v14, v15, v14
	v_mov_b32_e32 v15, v107
	v_fmac_f32_e32 v15, 0xbf6f5d39, v2
	v_mul_f32_e32 v108, 0x3f62ad3f, v54
	v_add_f32_e32 v14, v15, v14
	v_mov_b32_e32 v15, v108
	;; [unrolled: 4-line block ×4, first 2 shown]
	v_mul_f32_e32 v111, 0xbe750f2a, v58
	v_fmac_f32_e32 v15, 0x3df6dbef, v3
	v_mov_b32_e32 v16, v111
	v_add_f32_e32 v15, v37, v15
	v_fmac_f32_e32 v16, 0xbf788fa5, v57
	v_mul_f32_e32 v112, 0x3f6f5d39, v60
	v_add_f32_e32 v15, v16, v15
	v_mov_b32_e32 v16, v112
	v_fmac_f32_e32 v16, 0xbeb58ec6, v59
	v_mul_f32_e32 v113, 0x3eedf032, v62
	v_add_f32_e32 v15, v16, v15
	v_mov_b32_e32 v16, v113
	;; [unrolled: 4-line block ×6, first 2 shown]
	v_mul_f32_e32 v118, 0xbeb58ec6, v19
	v_fmac_f32_e32 v16, 0x3f52af12, v5
	v_mov_b32_e32 v17, v118
	v_add_f32_e32 v16, v38, v16
	v_fmac_f32_e32 v17, 0x3f6f5d39, v4
	v_mul_f32_e32 v119, 0xbf788fa5, v53
	v_add_f32_e32 v16, v17, v16
	v_mov_b32_e32 v17, v119
	v_fmac_f32_e32 v17, 0x3e750f2a, v2
	v_mul_f32_e32 v120, 0xbf3f9e67, v54
	v_add_f32_e32 v16, v17, v16
	v_mov_b32_e32 v17, v120
	v_add_f32_e32 v45, v38, v45
	v_fmac_f32_e32 v17, 0xbf29c268, v1
	v_mul_f32_e32 v121, 0x3df6dbef, v55
	v_add_f32_e32 v45, v45, v46
	v_add_f32_e32 v16, v17, v16
	v_mov_b32_e32 v17, v121
	v_add_f32_e32 v21, v45, v21
	v_fmac_f32_e32 v17, 0xbf7e222b, v0
	v_mul_f32_e32 v122, 0xbf52af12, v56
	v_add_f32_e32 v21, v21, v23
	v_add_f32_e32 v16, v17, v16
	v_mov_b32_e32 v17, v122
	v_mul_f32_e32 v123, 0xbf6f5d39, v58
	v_add_f32_e32 v21, v21, v50
	v_fmac_f32_e32 v17, 0x3f116cb1, v3
	v_mov_b32_e32 v124, v123
	v_add_f32_e32 v21, v21, v52
	v_add_f32_e32 v17, v37, v17
	v_fmac_f32_e32 v124, 0xbeb58ec6, v57
	v_add_f32_e32 v21, v21, v51
	v_add_f32_e32 v17, v124, v17
	v_mul_f32_e32 v124, 0xbe750f2a, v60
	v_add_f32_e32 v21, v21, v49
	v_mov_b32_e32 v125, v124
	v_add_f32_e32 v21, v21, v48
	v_fmac_f32_e32 v125, 0xbf788fa5, v59
	v_add_f32_e32 v21, v21, v47
	v_add_f32_e32 v17, v125, v17
	v_mul_f32_e32 v125, 0x3f29c268, v62
	v_add_f32_e32 v20, v21, v20
	v_add_f32_e32 v21, v37, v69
	v_mov_b32_e32 v126, v125
	v_add_f32_e32 v21, v21, v70
	v_fmac_f32_e32 v126, 0xbf3f9e67, v61
	v_add_f32_e32 v21, v21, v75
	v_add_f32_e32 v17, v126, v17
	v_mul_f32_e32 v126, 0x3f7e222b, v65
	v_add_f32_e32 v21, v21, v76
	v_mov_b32_e32 v127, v126
	v_add_f32_e32 v21, v21, v77
	v_fmac_f32_e32 v127, 0x3df6dbef, v64
	v_mul_f32_e32 v128, 0x3f62ad3f, v81
	v_add_f32_e32 v21, v21, v79
	v_add_f32_e32 v127, v127, v17
	v_mov_b32_e32 v17, v128
	v_add_f32_e32 v21, v21, v80
	v_fmac_f32_e32 v17, 0xbeedf032, v67
	v_mul_f32_e32 v129, 0x3eedf032, v83
	v_add_f32_e32 v21, v21, v78
	v_add_f32_e32 v17, v17, v16
	v_mov_b32_e32 v16, v129
	v_add_f32_e32 v21, v21, v74
	v_fmac_f32_e32 v16, 0x3f62ad3f, v82
	v_add_f32_e32 v21, v21, v73
	v_add_f32_e32 v16, v16, v127
	v_mul_f32_e32 v127, 0x3f62ad3f, v18
	v_add_f32_e32 v23, v21, v72
	v_fmac_f32_e32 v85, 0xbe750f2a, v5
	v_mov_b32_e32 v18, v127
	v_mul_f32_e32 v130, 0x3f116cb1, v19
	v_add_f32_e32 v21, v20, v22
	v_add_f32_e32 v20, v23, v71
	;; [unrolled: 1-line block ×3, first 2 shown]
	v_fmac_f32_e32 v86, 0x3eedf032, v4
	v_fma_f32 v23, v3, s9, -v90
	v_fmac_f32_e32 v18, 0x3eedf032, v5
	v_mov_b32_e32 v19, v130
	v_add_f32_e32 v22, v86, v22
	v_fmac_f32_e32 v87, 0xbf29c268, v2
	v_add_f32_e32 v23, v37, v23
	v_fma_f32 v45, v57, s14, -v91
	v_add_f32_e32 v18, v38, v18
	v_fmac_f32_e32 v19, 0x3f52af12, v4
	v_mul_f32_e32 v53, 0x3df6dbef, v53
	v_add_f32_e32 v22, v87, v22
	v_fmac_f32_e32 v88, 0x3f52af12, v1
	v_add_f32_e32 v23, v45, v23
	v_fma_f32 v45, v59, s6, -v92
	v_add_f32_e32 v18, v19, v18
	v_mov_b32_e32 v19, v53
	v_add_f32_e32 v22, v88, v22
	v_fmac_f32_e32 v89, 0xbf6f5d39, v0
	v_add_f32_e32 v23, v45, v23
	v_fma_f32 v45, v61, s8, -v93
	v_fmac_f32_e32 v19, 0x3f7e222b, v2
	v_mul_f32_e32 v54, 0xbeb58ec6, v54
	v_add_f32_e32 v22, v89, v22
	v_add_f32_e32 v23, v45, v23
	v_fma_f32 v45, v64, s15, -v94
	v_fmac_f32_e32 v96, 0x3f7e222b, v67
	v_add_f32_e32 v18, v19, v18
	v_mov_b32_e32 v19, v54
	v_add_f32_e32 v45, v45, v23
	v_add_f32_e32 v23, v96, v22
	v_fma_f32 v22, v82, s7, -v97
	v_fmac_f32_e32 v63, 0xbf6f5d39, v5
	v_fmac_f32_e32 v19, 0x3f6f5d39, v1
	v_mul_f32_e32 v55, 0xbf3f9e67, v55
	v_add_f32_e32 v22, v22, v45
	v_add_f32_e32 v45, v38, v63
	v_fmac_f32_e32 v66, 0x3f29c268, v4
	v_fma_f32 v46, v3, s15, -v98
	v_add_f32_e32 v18, v19, v18
	v_mov_b32_e32 v19, v55
	v_add_f32_e32 v45, v66, v45
	v_fmac_f32_e32 v68, 0x3eedf032, v2
	v_add_f32_e32 v46, v37, v46
	v_fma_f32 v47, v57, s6, -v99
	v_fmac_f32_e32 v19, 0x3f29c268, v0
	v_mul_f32_e32 v56, 0xbeedf032, v56
	v_add_f32_e32 v45, v68, v45
	v_fmac_f32_e32 v84, 0xbf7e222b, v1
	v_add_f32_e32 v46, v47, v46
	v_fma_f32 v47, v59, s14, -v100
	v_add_f32_e32 v18, v19, v18
	v_mov_b32_e32 v19, v56
	v_mul_f32_e32 v58, 0xbf52af12, v58
	v_add_f32_e32 v45, v84, v45
	v_fmac_f32_e32 v95, 0x3e750f2a, v0
	v_add_f32_e32 v46, v47, v46
	v_fma_f32 v47, v61, s7, -v101
	v_fmac_f32_e32 v19, 0x3f62ad3f, v3
	v_mov_b32_e32 v131, v58
	v_add_f32_e32 v45, v95, v45
	v_add_f32_e32 v46, v47, v46
	v_fma_f32 v47, v64, s9, -v102
	v_fmac_f32_e32 v103, 0x3f52af12, v67
	v_add_f32_e32 v19, v37, v19
	v_fmac_f32_e32 v131, 0x3f116cb1, v57
	v_mul_f32_e32 v60, 0xbf7e222b, v60
	v_add_f32_e32 v47, v47, v46
	v_add_f32_e32 v46, v103, v45
	v_fma_f32 v45, v82, s8, -v104
	v_fmac_f32_e32 v105, 0xbf7e222b, v5
	v_add_f32_e32 v19, v131, v19
	v_mov_b32_e32 v131, v60
	v_add_f32_e32 v45, v45, v47
	v_add_f32_e32 v47, v38, v105
	v_fmac_f32_e32 v106, 0xbe750f2a, v4
	v_fma_f32 v48, v3, s7, -v110
	v_fmac_f32_e32 v131, 0x3df6dbef, v59
	v_mul_f32_e32 v62, 0xbf6f5d39, v62
	v_add_f32_e32 v47, v106, v47
	v_fmac_f32_e32 v107, 0x3f6f5d39, v2
	v_add_f32_e32 v48, v37, v48
	v_fma_f32 v49, v57, s9, -v111
	v_fmac_f32_e32 v127, 0xbeedf032, v5
	v_add_f32_e32 v19, v131, v19
	v_mov_b32_e32 v131, v62
	v_add_f32_e32 v47, v107, v47
	v_fmac_f32_e32 v108, 0x3eedf032, v1
	v_add_f32_e32 v48, v49, v48
	v_fma_f32 v49, v59, s15, -v112
	v_fmac_f32_e32 v117, 0xbf52af12, v5
	v_add_f32_e32 v5, v38, v127
	v_fmac_f32_e32 v130, 0xbf52af12, v4
	v_fmac_f32_e32 v131, 0xbeb58ec6, v61
	v_mul_f32_e32 v65, 0xbf29c268, v65
	v_add_f32_e32 v47, v108, v47
	v_fmac_f32_e32 v109, 0xbf52af12, v0
	v_add_f32_e32 v48, v49, v48
	v_fma_f32 v49, v61, s14, -v113
	v_fmac_f32_e32 v118, 0xbf6f5d39, v4
	v_add_f32_e32 v4, v130, v5
	v_fmac_f32_e32 v53, 0xbf7e222b, v2
	v_add_f32_e32 v19, v131, v19
	v_mov_b32_e32 v131, v65
	v_add_f32_e32 v47, v109, v47
	v_add_f32_e32 v48, v49, v48
	v_fma_f32 v49, v64, s8, -v114
	v_fmac_f32_e32 v115, 0xbf29c268, v67
	v_fmac_f32_e32 v119, 0xbe750f2a, v2
	v_add_f32_e32 v2, v53, v4
	v_fmac_f32_e32 v54, 0xbf6f5d39, v1
	v_fmac_f32_e32 v131, 0xbf3f9e67, v64
	v_mul_f32_e32 v81, 0xbf788fa5, v81
	v_add_f32_e32 v49, v49, v48
	v_add_f32_e32 v48, v115, v47
	v_fma_f32 v47, v82, s6, -v116
	v_fmac_f32_e32 v120, 0x3f29c268, v1
	v_add_f32_e32 v1, v54, v2
	v_fmac_f32_e32 v55, 0xbf29c268, v0
	v_add_f32_e32 v131, v131, v19
	v_mov_b32_e32 v19, v81
	v_add_f32_e32 v47, v47, v49
	v_add_f32_e32 v49, v38, v117
	v_fmac_f32_e32 v121, 0x3f7e222b, v0
	v_add_f32_e32 v0, v55, v1
	v_fmac_f32_e32 v81, 0xbe750f2a, v67
	v_add_f32_e32 v49, v118, v49
	v_add_f32_e32 v1, v81, v0
	v_fma_f32 v0, v3, s14, -v56
	v_add_f32_e32 v49, v119, v49
	v_add_f32_e32 v0, v37, v0
	v_fma_f32 v2, v57, s8, -v58
	v_add_f32_e32 v49, v120, v49
	v_fma_f32 v50, v3, s8, -v122
	;; [unrolled: 2-line block ×3, first 2 shown]
	v_add_f32_e32 v49, v121, v49
	v_add_f32_e32 v50, v37, v50
	v_fma_f32 v51, v57, s15, -v123
	v_fmac_f32_e32 v128, 0x3eedf032, v67
	v_add_f32_e32 v0, v2, v0
	v_fma_f32 v2, v61, s15, -v62
	v_fmac_f32_e32 v19, 0x3e750f2a, v67
	v_mul_f32_e32 v83, 0xbe750f2a, v83
	v_add_f32_e32 v51, v51, v50
	v_add_f32_e32 v50, v128, v49
	v_fma_f32 v49, v59, s9, -v124
	v_add_f32_e32 v0, v2, v0
	v_fma_f32 v2, v64, s6, -v65
	v_add_f32_e32 v19, v19, v18
	v_mov_b32_e32 v18, v83
	v_add_f32_e32 v49, v49, v51
	v_fma_f32 v51, v61, s6, -v125
	v_add_f32_e32 v0, v2, v0
	v_fma_f32 v2, v82, s9, -v83
	s_movk_i32 s6, 0x270
	v_mov_b32_e32 v3, 3
	v_fmac_f32_e32 v18, 0xbf788fa5, v82
	v_add_f32_e32 v49, v51, v49
	v_fma_f32 v51, v64, s7, -v126
	v_add_f32_e32 v0, v2, v0
	v_mad_u32_u24 v2, v33, s6, 0
	v_lshlrev_b32_sdwa v3, v3, v35 dst_sel:DWORD dst_unused:UNUSED_PAD src0_sel:DWORD src1_sel:BYTE_0
	v_add_f32_e32 v18, v18, v131
	v_add_f32_e32 v49, v51, v49
	v_fma_f32 v51, v82, s14, -v129
	v_add3_u32 v2, v2, v3, v29
	v_add_f32_e32 v49, v51, v49
	ds_write2_b64 v2, v[20:21], v[18:19] offset1:6
	ds_write2_b64 v2, v[16:17], v[14:15] offset0:12 offset1:18
	ds_write2_b64 v2, v[12:13], v[10:11] offset0:24 offset1:30
	;; [unrolled: 1-line block ×5, first 2 shown]
	ds_write_b64 v2, v[0:1] offset:576
.LBB0_20:
	s_or_b64 exec, exec, s[4:5]
	v_lshlrev_b32_e32 v15, 2, v28
	v_mov_b32_e32 v16, 0
	v_lshlrev_b64 v[0:1], 3, v[15:16]
	v_mov_b32_e32 v49, s13
	v_add_co_u32_e32 v8, vcc, s12, v0
	v_addc_co_u32_e32 v9, vcc, v49, v1, vcc
	s_waitcnt lgkmcnt(0)
	s_barrier
	global_load_dwordx4 v[0:3], v[8:9], off offset:608
	global_load_dwordx4 v[4:7], v[8:9], off offset:624
	v_lshlrev_b32_e32 v8, 3, v30
	v_add_u32_e32 v50, 0x800, v42
	ds_read_b64 v[17:18], v40
	v_add_u32_e32 v51, 0x1000, v42
	v_add3_u32 v59, 0, v31, v29
	ds_read_b64 v[19:20], v44
	ds_read_b64 v[21:22], v43
	ds_read_b64 v[37:38], v42 offset:5616
	v_add3_u32 v60, 0, v8, v29
	ds_read2_b64 v[8:11], v50 offset0:134 offset1:212
	ds_read_b64 v[45:46], v60
	ds_read2_b64 v[12:15], v51 offset0:34 offset1:112
	ds_read_b64 v[47:48], v59
	s_waitcnt vmcnt(0) lgkmcnt(0)
	s_barrier
	s_add_u32 s6, s12, 0x1850
	s_addc_u32 s7, s13, 0
	v_mul_f32_e32 v23, v1, v20
	v_mul_f32_e32 v31, v3, v46
	;; [unrolled: 1-line block ×7, first 2 shown]
	v_fmac_f32_e32 v23, v0, v19
	v_fmac_f32_e32 v31, v2, v45
	;; [unrolled: 1-line block ×3, first 2 shown]
	v_mul_f32_e32 v33, v3, v45
	v_mul_f32_e32 v52, v5, v10
	v_mul_f32_e32 v54, v7, v14
	v_mul_f32_e32 v56, v9, v3
	v_mul_f32_e32 v3, v8, v3
	v_mul_f32_e32 v57, v13, v5
	v_mul_f32_e32 v5, v12, v5
	v_fma_f32 v19, v0, v20, -v29
	v_fmac_f32_e32 v53, v6, v14
	v_fmac_f32_e32 v55, v0, v47
	v_fma_f32 v29, v0, v48, -v1
	v_add_f32_e32 v0, v17, v23
	v_add_f32_e32 v1, v31, v35
	v_mul_f32_e32 v58, v38, v7
	v_mul_f32_e32 v7, v37, v7
	v_fma_f32 v20, v2, v46, -v33
	v_fma_f32 v10, v4, v11, -v52
	;; [unrolled: 1-line block ×3, first 2 shown]
	v_fmac_f32_e32 v56, v8, v2
	v_fma_f32 v33, v9, v2, -v3
	v_fmac_f32_e32 v57, v12, v4
	v_fma_f32 v45, v13, v4, -v5
	v_sub_f32_e32 v2, v23, v31
	v_sub_f32_e32 v4, v53, v35
	v_add_f32_e32 v12, v0, v31
	v_fma_f32 v0, -0.5, v1, v17
	v_fmac_f32_e32 v58, v37, v6
	v_fma_f32 v37, v38, v6, -v7
	v_sub_f32_e32 v3, v19, v11
	v_add_f32_e32 v6, v23, v53
	v_add_f32_e32 v1, v2, v4
	v_mov_b32_e32 v2, v0
	v_sub_f32_e32 v5, v20, v10
	v_fma_f32 v17, -0.5, v6, v17
	v_fmac_f32_e32 v0, 0x3f737871, v3
	v_fmac_f32_e32 v2, 0xbf737871, v3
	v_mov_b32_e32 v4, v17
	v_fmac_f32_e32 v0, 0x3f167918, v5
	v_fmac_f32_e32 v2, 0xbf167918, v5
	v_sub_f32_e32 v7, v31, v23
	v_sub_f32_e32 v8, v35, v53
	v_add_f32_e32 v9, v18, v19
	v_fmac_f32_e32 v17, 0xbf737871, v5
	v_fmac_f32_e32 v4, 0x3f737871, v5
	;; [unrolled: 1-line block ×4, first 2 shown]
	v_add_f32_e32 v1, v20, v10
	v_add_f32_e32 v8, v7, v8
	;; [unrolled: 1-line block ×3, first 2 shown]
	v_fmac_f32_e32 v17, 0x3f167918, v3
	v_fmac_f32_e32 v4, 0xbf167918, v3
	v_fma_f32 v1, -0.5, v1, v18
	v_add_f32_e32 v7, v12, v35
	v_add_f32_e32 v9, v6, v10
	v_fmac_f32_e32 v17, 0x3e9e377a, v8
	v_fmac_f32_e32 v4, 0x3e9e377a, v8
	v_sub_f32_e32 v8, v23, v53
	v_mov_b32_e32 v3, v1
	v_add_f32_e32 v6, v7, v53
	v_add_f32_e32 v7, v9, v11
	v_fmac_f32_e32 v3, 0x3f737871, v8
	v_sub_f32_e32 v9, v31, v35
	v_sub_f32_e32 v5, v19, v20
	;; [unrolled: 1-line block ×3, first 2 shown]
	v_fmac_f32_e32 v1, 0xbf737871, v8
	v_fmac_f32_e32 v3, 0x3f167918, v9
	v_add_f32_e32 v5, v5, v12
	v_fmac_f32_e32 v1, 0xbf167918, v9
	v_fmac_f32_e32 v3, 0x3e9e377a, v5
	v_fmac_f32_e32 v1, 0x3e9e377a, v5
	v_add_f32_e32 v5, v19, v11
	v_fmac_f32_e32 v18, -0.5, v5
	v_mov_b32_e32 v5, v18
	v_fmac_f32_e32 v5, 0xbf737871, v9
	v_sub_f32_e32 v12, v20, v19
	v_sub_f32_e32 v10, v10, v11
	v_fmac_f32_e32 v18, 0x3f737871, v9
	v_fmac_f32_e32 v5, 0x3f167918, v8
	v_add_f32_e32 v10, v12, v10
	v_fmac_f32_e32 v18, 0xbf167918, v8
	v_add_f32_e32 v9, v56, v57
	v_fmac_f32_e32 v5, 0x3e9e377a, v10
	v_fmac_f32_e32 v18, 0x3e9e377a, v10
	v_fma_f32 v10, -0.5, v9, v21
	v_sub_f32_e32 v9, v29, v37
	v_mov_b32_e32 v12, v10
	v_fmac_f32_e32 v12, 0xbf737871, v9
	v_sub_f32_e32 v11, v33, v45
	v_sub_f32_e32 v13, v55, v56
	;; [unrolled: 1-line block ×3, first 2 shown]
	v_fmac_f32_e32 v10, 0x3f737871, v9
	v_fmac_f32_e32 v12, 0xbf167918, v11
	v_add_f32_e32 v13, v13, v14
	v_fmac_f32_e32 v10, 0x3f167918, v11
	v_fmac_f32_e32 v12, 0x3e9e377a, v13
	;; [unrolled: 1-line block ×3, first 2 shown]
	v_add_f32_e32 v13, v55, v58
	v_add_f32_e32 v8, v21, v55
	v_fma_f32 v21, -0.5, v13, v21
	v_mov_b32_e32 v14, v21
	v_fmac_f32_e32 v14, 0x3f737871, v11
	v_sub_f32_e32 v13, v56, v55
	v_sub_f32_e32 v15, v57, v58
	v_fmac_f32_e32 v21, 0xbf737871, v11
	v_add_f32_e32 v11, v33, v45
	v_fmac_f32_e32 v14, 0xbf167918, v9
	v_add_f32_e32 v13, v13, v15
	v_fmac_f32_e32 v21, 0x3f167918, v9
	v_fma_f32 v11, -0.5, v11, v22
	v_fmac_f32_e32 v14, 0x3e9e377a, v13
	v_fmac_f32_e32 v21, 0x3e9e377a, v13
	v_sub_f32_e32 v19, v55, v58
	v_mov_b32_e32 v13, v11
	v_fmac_f32_e32 v13, 0x3f737871, v19
	v_sub_f32_e32 v20, v56, v57
	v_sub_f32_e32 v15, v29, v33
	;; [unrolled: 1-line block ×3, first 2 shown]
	v_fmac_f32_e32 v11, 0xbf737871, v19
	v_fmac_f32_e32 v13, 0x3f167918, v20
	v_add_f32_e32 v15, v15, v23
	v_fmac_f32_e32 v11, 0xbf167918, v20
	v_add_f32_e32 v9, v22, v29
	v_fmac_f32_e32 v13, 0x3e9e377a, v15
	v_fmac_f32_e32 v11, 0x3e9e377a, v15
	v_add_f32_e32 v15, v29, v37
	v_add_f32_e32 v8, v8, v56
	;; [unrolled: 1-line block ×3, first 2 shown]
	v_fmac_f32_e32 v22, -0.5, v15
	v_add_f32_e32 v8, v8, v57
	v_add_f32_e32 v9, v9, v45
	v_mov_b32_e32 v15, v22
	v_sub_f32_e32 v23, v33, v29
	v_sub_f32_e32 v29, v45, v37
	v_add_f32_e32 v8, v8, v58
	v_add_f32_e32 v9, v9, v37
	v_fmac_f32_e32 v15, 0xbf737871, v20
	v_add_f32_e32 v23, v23, v29
	v_mov_b32_e32 v29, v16
	v_fmac_f32_e32 v15, 0x3f167918, v19
	v_fmac_f32_e32 v22, 0x3f737871, v20
	ds_write2_b64 v42, v[6:7], v[2:3] offset1:78
	ds_write2_b64 v42, v[4:5], v[17:18] offset0:156 offset1:234
	ds_write2_b64 v50, v[0:1], v[8:9] offset0:56 offset1:134
	v_lshlrev_b64 v[8:9], 3, v[28:29]
	v_fmac_f32_e32 v15, 0x3e9e377a, v23
	v_fmac_f32_e32 v22, 0xbf167918, v19
	v_add_u32_e32 v0, 0xc00, v42
	v_mov_b32_e32 v35, v16
	v_fmac_f32_e32 v22, 0x3e9e377a, v23
	ds_write2_b64 v0, v[12:13], v[14:15] offset0:84 offset1:162
	ds_write2_b64 v51, v[21:22], v[10:11] offset0:112 offset1:190
	v_add_co_u32_e32 v0, vcc, s12, v8
	v_lshlrev_b64 v[6:7], 3, v[34:35]
	v_addc_co_u32_e32 v1, vcc, v49, v9, vcc
	v_mov_b32_e32 v37, v16
	v_add_co_u32_e32 v2, vcc, s12, v6
	v_lshlrev_b64 v[4:5], 3, v[36:37]
	v_addc_co_u32_e32 v3, vcc, v49, v7, vcc
	v_mov_b32_e32 v33, v16
	s_waitcnt lgkmcnt(0)
	s_barrier
	global_load_dwordx2 v[18:19], v[0:1], off offset:3104
	global_load_dwordx2 v[20:21], v[2:3], off offset:3104
	v_add_co_u32_e32 v0, vcc, s12, v4
	v_lshlrev_b64 v[2:3], 3, v[32:33]
	v_addc_co_u32_e32 v1, vcc, v49, v5, vcc
	v_add_co_u32_e32 v10, vcc, s12, v2
	v_mov_b32_e32 v31, v16
	v_addc_co_u32_e32 v11, vcc, v49, v3, vcc
	global_load_dwordx2 v[22:23], v[0:1], off offset:3104
	global_load_dwordx2 v[37:38], v[10:11], off offset:3104
	v_lshlrev_b64 v[0:1], 3, v[30:31]
	v_add_co_u32_e32 v10, vcc, s12, v0
	v_addc_co_u32_e32 v11, vcc, v49, v1, vcc
	global_load_dwordx2 v[45:46], v[10:11], off offset:3104
	ds_read_b64 v[47:48], v40
	ds_read2_b64 v[10:13], v50 offset0:134 offset1:212
	ds_read_b64 v[49:50], v44
	ds_read2_b64 v[14:17], v51 offset0:34 offset1:112
	ds_read_b64 v[51:52], v59
	ds_read_b64 v[53:54], v60
	;; [unrolled: 1-line block ×3, first 2 shown]
	ds_read_b64 v[57:58], v42 offset:5616
	s_waitcnt vmcnt(0) lgkmcnt(0)
	s_barrier
	v_cmp_ne_u32_e32 vcc, 0, v28
	v_mul_f32_e32 v29, v19, v11
	v_fmac_f32_e32 v29, v18, v10
	v_mul_f32_e32 v10, v19, v10
	v_fma_f32 v11, v18, v11, -v10
	v_mul_f32_e32 v10, v21, v12
	v_mul_f32_e32 v18, v21, v13
	v_fma_f32 v19, v20, v13, -v10
	v_fmac_f32_e32 v18, v20, v12
	v_sub_f32_e32 v11, v48, v11
	v_fma_f32 v13, v48, 2.0, -v11
	v_mul_f32_e32 v10, v23, v14
	v_mul_f32_e32 v20, v23, v15
	v_fma_f32 v21, v22, v15, -v10
	v_mul_f32_e32 v10, v38, v16
	v_fmac_f32_e32 v20, v22, v14
	v_mul_f32_e32 v22, v38, v17
	v_fma_f32 v23, v37, v17, -v10
	v_fmac_f32_e32 v22, v37, v16
	v_mul_f32_e32 v31, v46, v58
	v_mul_f32_e32 v10, v46, v57
	v_fmac_f32_e32 v31, v45, v57
	v_fma_f32 v33, v45, v58, -v10
	v_sub_f32_e32 v10, v47, v29
	v_fma_f32 v12, v47, 2.0, -v10
	v_sub_f32_e32 v14, v55, v18
	v_sub_f32_e32 v15, v56, v19
	;; [unrolled: 1-line block ×8, first 2 shown]
	v_fma_f32 v16, v55, 2.0, -v14
	v_fma_f32 v17, v56, 2.0, -v15
	;; [unrolled: 1-line block ×8, first 2 shown]
	ds_write_b64 v42, v[12:13]
	ds_write_b64 v42, v[10:11] offset:3120
	ds_write_b64 v43, v[16:17]
	ds_write_b64 v43, v[14:15] offset:3120
	;; [unrolled: 2-line block ×5, first 2 shown]
	s_waitcnt lgkmcnt(0)
	s_barrier
	ds_read_b64 v[12:13], v40
	v_sub_u32_e32 v14, v39, v41
                                        ; implicit-def: $vgpr10
                                        ; implicit-def: $vgpr15
                                        ; implicit-def: $vgpr16
	s_and_saveexec_b64 s[4:5], vcc
	s_xor_b64 s[4:5], exec, s[4:5]
	s_cbranch_execz .LBB0_22
; %bb.21:
	v_mov_b32_e32 v10, s7
	v_add_co_u32_e32 v8, vcc, s6, v8
	v_addc_co_u32_e32 v9, vcc, v10, v9, vcc
	global_load_dwordx2 v[8:9], v[8:9], off
	ds_read_b64 v[10:11], v14 offset:6240
	s_waitcnt lgkmcnt(0)
	v_add_f32_e32 v17, v10, v12
	v_sub_f32_e32 v10, v12, v10
	v_add_f32_e32 v15, v11, v13
	v_sub_f32_e32 v11, v13, v11
	v_mul_f32_e32 v13, 0.5, v10
	v_mul_f32_e32 v12, 0.5, v15
	;; [unrolled: 1-line block ×3, first 2 shown]
	s_waitcnt vmcnt(0)
	v_mul_f32_e32 v11, v9, v13
	v_fma_f32 v16, v12, v9, v10
	v_fma_f32 v9, v12, v9, -v10
	v_fma_f32 v15, 0.5, v17, v11
	v_fma_f32 v10, v17, 0.5, -v11
	v_fma_f32 v16, -v8, v13, v16
	v_fmac_f32_e32 v15, v8, v12
	v_fma_f32 v10, -v8, v12, v10
	v_fma_f32 v11, -v8, v13, v9
                                        ; implicit-def: $vgpr12_vgpr13
.LBB0_22:
	s_andn2_saveexec_b64 s[4:5], s[4:5]
	s_cbranch_execz .LBB0_24
; %bb.23:
	ds_read_b32 v8, v39 offset:3124
	s_waitcnt lgkmcnt(1)
	v_add_f32_e32 v15, v12, v13
	v_sub_f32_e32 v10, v12, v13
	v_mov_b32_e32 v16, 0
	v_mov_b32_e32 v11, 0
	s_waitcnt lgkmcnt(0)
	v_xor_b32_e32 v8, 0x80000000, v8
	ds_write_b32 v39, v8 offset:3124
.LBB0_24:
	s_or_b64 exec, exec, s[4:5]
	v_mov_b32_e32 v8, s7
	v_add_co_u32_e32 v6, vcc, s6, v6
	v_addc_co_u32_e32 v7, vcc, v8, v7, vcc
	global_load_dwordx2 v[6:7], v[6:7], off
	v_add_co_u32_e32 v4, vcc, s6, v4
	v_addc_co_u32_e32 v5, vcc, v8, v5, vcc
	global_load_dwordx2 v[4:5], v[4:5], off
	;; [unrolled: 3-line block ×3, first 2 shown]
	ds_write2_b32 v40, v15, v16 offset1:1
	ds_write_b64 v14, v[10:11] offset:6240
	v_mov_b32_e32 v15, s7
	v_add_co_u32_e32 v0, vcc, s6, v0
	s_waitcnt lgkmcnt(2)
	v_lshl_add_u32 v12, v34, 3, v39
	v_addc_co_u32_e32 v1, vcc, v15, v1, vcc
	ds_read_b64 v[8:9], v12
	ds_read_b64 v[10:11], v14 offset:5616
	global_load_dwordx2 v[0:1], v[0:1], off
	v_lshl_add_u32 v13, v36, 3, v39
	s_waitcnt lgkmcnt(0)
	v_add_f32_e32 v15, v8, v10
	v_sub_f32_e32 v8, v8, v10
	v_add_f32_e32 v16, v9, v11
	v_sub_f32_e32 v9, v9, v11
	v_mul_f32_e32 v8, 0.5, v8
	v_mul_f32_e32 v10, 0.5, v16
	v_mul_f32_e32 v9, 0.5, v9
	s_waitcnt vmcnt(3)
	v_mul_f32_e32 v11, v7, v8
	v_fma_f32 v16, v10, v7, v9
	v_fma_f32 v7, v10, v7, -v9
	v_fma_f32 v9, 0.5, v15, v11
	v_fma_f32 v16, -v6, v8, v16
	v_fma_f32 v11, v15, 0.5, -v11
	v_fmac_f32_e32 v9, v6, v10
	v_fma_f32 v7, -v6, v8, v7
	v_fma_f32 v6, -v6, v10, v11
	ds_write2_b32 v12, v9, v16 offset1:1
	ds_write_b64 v14, v[6:7] offset:5616
	ds_read_b64 v[6:7], v13
	ds_read_b64 v[8:9], v14 offset:4992
	v_lshl_add_u32 v10, v32, 3, v39
	s_waitcnt lgkmcnt(0)
	v_add_f32_e32 v11, v6, v8
	v_sub_f32_e32 v6, v6, v8
	v_add_f32_e32 v12, v7, v9
	v_sub_f32_e32 v7, v7, v9
	v_mul_f32_e32 v6, 0.5, v6
	v_mul_f32_e32 v8, 0.5, v12
	v_mul_f32_e32 v7, 0.5, v7
	s_waitcnt vmcnt(2)
	v_mul_f32_e32 v9, v5, v6
	v_fma_f32 v12, v8, v5, v7
	v_fma_f32 v5, v8, v5, -v7
	v_fma_f32 v7, 0.5, v11, v9
	v_fma_f32 v12, -v4, v6, v12
	v_fma_f32 v9, v11, 0.5, -v9
	v_fmac_f32_e32 v7, v4, v8
	v_fma_f32 v5, -v4, v6, v5
	v_fma_f32 v4, -v4, v8, v9
	ds_write2_b32 v13, v7, v12 offset1:1
	ds_write_b64 v14, v[4:5] offset:4992
	ds_read_b64 v[4:5], v10
	ds_read_b64 v[6:7], v14 offset:4368
	;; [unrolled: 23-line block ×3, first 2 shown]
	s_waitcnt lgkmcnt(0)
	v_add_f32_e32 v6, v2, v4
	v_sub_f32_e32 v2, v2, v4
	v_add_f32_e32 v7, v3, v5
	v_sub_f32_e32 v3, v3, v5
	v_mul_f32_e32 v2, 0.5, v2
	v_mul_f32_e32 v4, 0.5, v7
	;; [unrolled: 1-line block ×3, first 2 shown]
	s_waitcnt vmcnt(0)
	v_mul_f32_e32 v5, v1, v2
	v_fma_f32 v7, v4, v1, v3
	v_fma_f32 v1, v4, v1, -v3
	v_fma_f32 v3, 0.5, v6, v5
	v_fma_f32 v7, -v0, v2, v7
	v_fma_f32 v5, v6, 0.5, -v5
	v_fmac_f32_e32 v3, v0, v4
	v_fma_f32 v1, -v0, v2, v1
	v_fma_f32 v0, -v0, v4, v5
	ds_write2_b32 v8, v3, v7 offset1:1
	ds_write_b64 v14, v[0:1] offset:3744
	s_waitcnt lgkmcnt(0)
	s_barrier
	s_and_saveexec_b64 s[4:5], s[0:1]
	s_cbranch_execz .LBB0_27
; %bb.25:
	v_mul_lo_u32 v0, s3, v26
	v_mul_lo_u32 v3, s2, v27
	v_mad_u64_u32 v[1:2], s[0:1], s2, v26, 0
	v_mov_b32_e32 v7, s11
	v_mov_b32_e32 v29, 0
	v_add3_u32 v2, v2, v3, v0
	v_lshlrev_b64 v[1:2], 3, v[1:2]
	v_lshl_add_u32 v0, v28, 3, v39
	v_add_co_u32_e32 v1, vcc, s10, v1
	v_addc_co_u32_e32 v9, vcc, v7, v2, vcc
	v_lshlrev_b64 v[7:8], 3, v[24:25]
	ds_read2_b64 v[3:6], v0 offset1:78
	v_add_co_u32_e32 v2, vcc, v1, v7
	v_addc_co_u32_e32 v1, vcc, v9, v8, vcc
	v_lshlrev_b64 v[7:8], 3, v[28:29]
	s_movk_i32 s0, 0x4d
	v_add_co_u32_e32 v7, vcc, v2, v7
	v_addc_co_u32_e32 v8, vcc, v1, v8, vcc
	s_waitcnt lgkmcnt(0)
	global_store_dwordx2 v[7:8], v[3:4], off
	v_add_u32_e32 v3, 0x4e, v28
	v_mov_b32_e32 v4, v29
	v_lshlrev_b64 v[3:4], 3, v[3:4]
	v_add_u32_e32 v7, 0x9c, v28
	v_add_co_u32_e32 v3, vcc, v2, v3
	v_addc_co_u32_e32 v4, vcc, v1, v4, vcc
	global_store_dwordx2 v[3:4], v[5:6], off
	v_mov_b32_e32 v8, v29
	ds_read2_b64 v[3:6], v0 offset0:156 offset1:234
	v_lshlrev_b64 v[7:8], 3, v[7:8]
	v_add_co_u32_e32 v7, vcc, v2, v7
	v_addc_co_u32_e32 v8, vcc, v1, v8, vcc
	s_waitcnt lgkmcnt(0)
	global_store_dwordx2 v[7:8], v[3:4], off
	v_add_u32_e32 v3, 0xea, v28
	v_mov_b32_e32 v4, v29
	v_lshlrev_b64 v[3:4], 3, v[3:4]
	v_add_u32_e32 v7, 0x138, v28
	v_add_co_u32_e32 v3, vcc, v2, v3
	v_addc_co_u32_e32 v4, vcc, v1, v4, vcc
	global_store_dwordx2 v[3:4], v[5:6], off
	v_add_u32_e32 v3, 0x800, v0
	v_mov_b32_e32 v8, v29
	ds_read2_b64 v[3:6], v3 offset0:56 offset1:134
	v_lshlrev_b64 v[7:8], 3, v[7:8]
	v_add_co_u32_e32 v7, vcc, v2, v7
	v_addc_co_u32_e32 v8, vcc, v1, v8, vcc
	s_waitcnt lgkmcnt(0)
	global_store_dwordx2 v[7:8], v[3:4], off
	v_add_u32_e32 v3, 0x186, v28
	v_mov_b32_e32 v4, v29
	v_lshlrev_b64 v[3:4], 3, v[3:4]
	v_add_u32_e32 v7, 0x1d4, v28
	v_add_co_u32_e32 v3, vcc, v2, v3
	v_addc_co_u32_e32 v4, vcc, v1, v4, vcc
	global_store_dwordx2 v[3:4], v[5:6], off
	v_add_u32_e32 v3, 0xc00, v0
	;; [unrolled: 15-line block ×3, first 2 shown]
	v_mov_b32_e32 v8, v29
	ds_read2_b64 v[3:6], v3 offset0:112 offset1:190
	v_lshlrev_b64 v[7:8], 3, v[7:8]
	v_add_co_u32_e32 v7, vcc, v2, v7
	v_addc_co_u32_e32 v8, vcc, v1, v8, vcc
	s_waitcnt lgkmcnt(0)
	global_store_dwordx2 v[7:8], v[3:4], off
	v_add_u32_e32 v3, 0x2be, v28
	v_mov_b32_e32 v4, v29
	v_lshlrev_b64 v[3:4], 3, v[3:4]
	v_add_co_u32_e32 v3, vcc, v2, v3
	v_addc_co_u32_e32 v4, vcc, v1, v4, vcc
	v_cmp_eq_u32_e32 vcc, s0, v28
	global_store_dwordx2 v[3:4], v[5:6], off
	s_and_b64 exec, exec, vcc
	s_cbranch_execz .LBB0_27
; %bb.26:
	ds_read_b64 v[3:4], v0 offset:5624
	v_add_co_u32_e32 v0, vcc, 0x1000, v2
	v_addc_co_u32_e32 v1, vcc, 0, v1, vcc
	s_waitcnt lgkmcnt(0)
	global_store_dwordx2 v[0:1], v[3:4], off offset:2144
.LBB0_27:
	s_endpgm
	.section	.rodata,"a",@progbits
	.p2align	6, 0x0
	.amdhsa_kernel fft_rtc_back_len780_factors_2_3_13_5_2_wgs_234_tpt_78_halfLds_sp_op_CI_CI_unitstride_sbrr_R2C_dirReg
		.amdhsa_group_segment_fixed_size 0
		.amdhsa_private_segment_fixed_size 0
		.amdhsa_kernarg_size 104
		.amdhsa_user_sgpr_count 6
		.amdhsa_user_sgpr_private_segment_buffer 1
		.amdhsa_user_sgpr_dispatch_ptr 0
		.amdhsa_user_sgpr_queue_ptr 0
		.amdhsa_user_sgpr_kernarg_segment_ptr 1
		.amdhsa_user_sgpr_dispatch_id 0
		.amdhsa_user_sgpr_flat_scratch_init 0
		.amdhsa_user_sgpr_private_segment_size 0
		.amdhsa_uses_dynamic_stack 0
		.amdhsa_system_sgpr_private_segment_wavefront_offset 0
		.amdhsa_system_sgpr_workgroup_id_x 1
		.amdhsa_system_sgpr_workgroup_id_y 0
		.amdhsa_system_sgpr_workgroup_id_z 0
		.amdhsa_system_sgpr_workgroup_info 0
		.amdhsa_system_vgpr_workitem_id 0
		.amdhsa_next_free_vgpr 132
		.amdhsa_next_free_sgpr 28
		.amdhsa_reserve_vcc 1
		.amdhsa_reserve_flat_scratch 0
		.amdhsa_float_round_mode_32 0
		.amdhsa_float_round_mode_16_64 0
		.amdhsa_float_denorm_mode_32 3
		.amdhsa_float_denorm_mode_16_64 3
		.amdhsa_dx10_clamp 1
		.amdhsa_ieee_mode 1
		.amdhsa_fp16_overflow 0
		.amdhsa_exception_fp_ieee_invalid_op 0
		.amdhsa_exception_fp_denorm_src 0
		.amdhsa_exception_fp_ieee_div_zero 0
		.amdhsa_exception_fp_ieee_overflow 0
		.amdhsa_exception_fp_ieee_underflow 0
		.amdhsa_exception_fp_ieee_inexact 0
		.amdhsa_exception_int_div_zero 0
	.end_amdhsa_kernel
	.text
.Lfunc_end0:
	.size	fft_rtc_back_len780_factors_2_3_13_5_2_wgs_234_tpt_78_halfLds_sp_op_CI_CI_unitstride_sbrr_R2C_dirReg, .Lfunc_end0-fft_rtc_back_len780_factors_2_3_13_5_2_wgs_234_tpt_78_halfLds_sp_op_CI_CI_unitstride_sbrr_R2C_dirReg
                                        ; -- End function
	.section	.AMDGPU.csdata,"",@progbits
; Kernel info:
; codeLenInByte = 9172
; NumSgprs: 32
; NumVgprs: 132
; ScratchSize: 0
; MemoryBound: 0
; FloatMode: 240
; IeeeMode: 1
; LDSByteSize: 0 bytes/workgroup (compile time only)
; SGPRBlocks: 3
; VGPRBlocks: 32
; NumSGPRsForWavesPerEU: 32
; NumVGPRsForWavesPerEU: 132
; Occupancy: 1
; WaveLimiterHint : 1
; COMPUTE_PGM_RSRC2:SCRATCH_EN: 0
; COMPUTE_PGM_RSRC2:USER_SGPR: 6
; COMPUTE_PGM_RSRC2:TRAP_HANDLER: 0
; COMPUTE_PGM_RSRC2:TGID_X_EN: 1
; COMPUTE_PGM_RSRC2:TGID_Y_EN: 0
; COMPUTE_PGM_RSRC2:TGID_Z_EN: 0
; COMPUTE_PGM_RSRC2:TIDIG_COMP_CNT: 0
	.type	__hip_cuid_d7423c22c2935799,@object ; @__hip_cuid_d7423c22c2935799
	.section	.bss,"aw",@nobits
	.globl	__hip_cuid_d7423c22c2935799
__hip_cuid_d7423c22c2935799:
	.byte	0                               ; 0x0
	.size	__hip_cuid_d7423c22c2935799, 1

	.ident	"AMD clang version 19.0.0git (https://github.com/RadeonOpenCompute/llvm-project roc-6.4.0 25133 c7fe45cf4b819c5991fe208aaa96edf142730f1d)"
	.section	".note.GNU-stack","",@progbits
	.addrsig
	.addrsig_sym __hip_cuid_d7423c22c2935799
	.amdgpu_metadata
---
amdhsa.kernels:
  - .args:
      - .actual_access:  read_only
        .address_space:  global
        .offset:         0
        .size:           8
        .value_kind:     global_buffer
      - .offset:         8
        .size:           8
        .value_kind:     by_value
      - .actual_access:  read_only
        .address_space:  global
        .offset:         16
        .size:           8
        .value_kind:     global_buffer
      - .actual_access:  read_only
        .address_space:  global
        .offset:         24
        .size:           8
        .value_kind:     global_buffer
      - .actual_access:  read_only
        .address_space:  global
        .offset:         32
        .size:           8
        .value_kind:     global_buffer
      - .offset:         40
        .size:           8
        .value_kind:     by_value
      - .actual_access:  read_only
        .address_space:  global
        .offset:         48
        .size:           8
        .value_kind:     global_buffer
      - .actual_access:  read_only
        .address_space:  global
        .offset:         56
        .size:           8
        .value_kind:     global_buffer
      - .offset:         64
        .size:           4
        .value_kind:     by_value
      - .actual_access:  read_only
        .address_space:  global
        .offset:         72
        .size:           8
        .value_kind:     global_buffer
      - .actual_access:  read_only
        .address_space:  global
        .offset:         80
        .size:           8
        .value_kind:     global_buffer
      - .actual_access:  read_only
        .address_space:  global
        .offset:         88
        .size:           8
        .value_kind:     global_buffer
      - .actual_access:  write_only
        .address_space:  global
        .offset:         96
        .size:           8
        .value_kind:     global_buffer
    .group_segment_fixed_size: 0
    .kernarg_segment_align: 8
    .kernarg_segment_size: 104
    .language:       OpenCL C
    .language_version:
      - 2
      - 0
    .max_flat_workgroup_size: 234
    .name:           fft_rtc_back_len780_factors_2_3_13_5_2_wgs_234_tpt_78_halfLds_sp_op_CI_CI_unitstride_sbrr_R2C_dirReg
    .private_segment_fixed_size: 0
    .sgpr_count:     32
    .sgpr_spill_count: 0
    .symbol:         fft_rtc_back_len780_factors_2_3_13_5_2_wgs_234_tpt_78_halfLds_sp_op_CI_CI_unitstride_sbrr_R2C_dirReg.kd
    .uniform_work_group_size: 1
    .uses_dynamic_stack: false
    .vgpr_count:     132
    .vgpr_spill_count: 0
    .wavefront_size: 64
amdhsa.target:   amdgcn-amd-amdhsa--gfx906
amdhsa.version:
  - 1
  - 2
...

	.end_amdgpu_metadata
